;; amdgpu-corpus repo=ROCm/rocFFT kind=compiled arch=gfx906 opt=O3
	.text
	.amdgcn_target "amdgcn-amd-amdhsa--gfx906"
	.amdhsa_code_object_version 6
	.protected	fft_rtc_back_len945_factors_3_3_3_5_7_wgs_63_tpt_63_halfLds_sp_op_CI_CI_unitstride_sbrr_dirReg ; -- Begin function fft_rtc_back_len945_factors_3_3_3_5_7_wgs_63_tpt_63_halfLds_sp_op_CI_CI_unitstride_sbrr_dirReg
	.globl	fft_rtc_back_len945_factors_3_3_3_5_7_wgs_63_tpt_63_halfLds_sp_op_CI_CI_unitstride_sbrr_dirReg
	.p2align	8
	.type	fft_rtc_back_len945_factors_3_3_3_5_7_wgs_63_tpt_63_halfLds_sp_op_CI_CI_unitstride_sbrr_dirReg,@function
fft_rtc_back_len945_factors_3_3_3_5_7_wgs_63_tpt_63_halfLds_sp_op_CI_CI_unitstride_sbrr_dirReg: ; @fft_rtc_back_len945_factors_3_3_3_5_7_wgs_63_tpt_63_halfLds_sp_op_CI_CI_unitstride_sbrr_dirReg
; %bb.0:
	s_load_dwordx4 s[12:15], s[4:5], 0x58
	s_load_dwordx4 s[8:11], s[4:5], 0x0
	;; [unrolled: 1-line block ×3, first 2 shown]
	v_mul_u32_u24_e32 v1, 0x411, v0
	v_mov_b32_e32 v7, 0
	v_mov_b32_e32 v5, 0
	s_waitcnt lgkmcnt(0)
	v_cmp_lt_u64_e64 s[0:1], s[10:11], 2
	v_add_u32_sdwa v9, s6, v1 dst_sel:DWORD dst_unused:UNUSED_PAD src0_sel:DWORD src1_sel:WORD_1
	v_mov_b32_e32 v10, v7
	s_and_b64 vcc, exec, s[0:1]
	v_mov_b32_e32 v6, 0
	s_cbranch_vccnz .LBB0_8
; %bb.1:
	s_load_dwordx2 s[0:1], s[4:5], 0x10
	s_add_u32 s2, s18, 8
	s_addc_u32 s3, s19, 0
	s_add_u32 s6, s16, 8
	s_addc_u32 s7, s17, 0
	v_mov_b32_e32 v5, 0
	s_waitcnt lgkmcnt(0)
	s_add_u32 s20, s0, 8
	v_mov_b32_e32 v6, 0
	v_mov_b32_e32 v1, v5
	s_addc_u32 s21, s1, 0
	s_mov_b64 s[22:23], 1
	v_mov_b32_e32 v2, v6
.LBB0_2:                                ; =>This Inner Loop Header: Depth=1
	s_load_dwordx2 s[24:25], s[20:21], 0x0
                                        ; implicit-def: $vgpr3_vgpr4
	s_waitcnt lgkmcnt(0)
	v_or_b32_e32 v8, s25, v10
	v_cmp_ne_u64_e32 vcc, 0, v[7:8]
	s_and_saveexec_b64 s[0:1], vcc
	s_xor_b64 s[26:27], exec, s[0:1]
	s_cbranch_execz .LBB0_4
; %bb.3:                                ;   in Loop: Header=BB0_2 Depth=1
	v_cvt_f32_u32_e32 v3, s24
	v_cvt_f32_u32_e32 v4, s25
	s_sub_u32 s0, 0, s24
	s_subb_u32 s1, 0, s25
	v_mac_f32_e32 v3, 0x4f800000, v4
	v_rcp_f32_e32 v3, v3
	v_mul_f32_e32 v3, 0x5f7ffffc, v3
	v_mul_f32_e32 v4, 0x2f800000, v3
	v_trunc_f32_e32 v4, v4
	v_mac_f32_e32 v3, 0xcf800000, v4
	v_cvt_u32_f32_e32 v4, v4
	v_cvt_u32_f32_e32 v3, v3
	v_mul_lo_u32 v8, s0, v4
	v_mul_hi_u32 v11, s0, v3
	v_mul_lo_u32 v13, s1, v3
	v_mul_lo_u32 v12, s0, v3
	v_add_u32_e32 v8, v11, v8
	v_add_u32_e32 v8, v8, v13
	v_mul_hi_u32 v11, v3, v12
	v_mul_lo_u32 v13, v3, v8
	v_mul_hi_u32 v15, v3, v8
	v_mul_hi_u32 v14, v4, v12
	v_mul_lo_u32 v12, v4, v12
	v_mul_hi_u32 v16, v4, v8
	v_add_co_u32_e32 v11, vcc, v11, v13
	v_addc_co_u32_e32 v13, vcc, 0, v15, vcc
	v_mul_lo_u32 v8, v4, v8
	v_add_co_u32_e32 v11, vcc, v11, v12
	v_addc_co_u32_e32 v11, vcc, v13, v14, vcc
	v_addc_co_u32_e32 v12, vcc, 0, v16, vcc
	v_add_co_u32_e32 v8, vcc, v11, v8
	v_addc_co_u32_e32 v11, vcc, 0, v12, vcc
	v_add_co_u32_e32 v3, vcc, v3, v8
	v_addc_co_u32_e32 v4, vcc, v4, v11, vcc
	v_mul_lo_u32 v8, s0, v4
	v_mul_hi_u32 v11, s0, v3
	v_mul_lo_u32 v12, s1, v3
	v_mul_lo_u32 v13, s0, v3
	v_add_u32_e32 v8, v11, v8
	v_add_u32_e32 v8, v8, v12
	v_mul_lo_u32 v14, v3, v8
	v_mul_hi_u32 v15, v3, v13
	v_mul_hi_u32 v16, v3, v8
	v_mul_hi_u32 v12, v4, v13
	v_mul_lo_u32 v13, v4, v13
	v_mul_hi_u32 v11, v4, v8
	v_add_co_u32_e32 v14, vcc, v15, v14
	v_addc_co_u32_e32 v15, vcc, 0, v16, vcc
	v_mul_lo_u32 v8, v4, v8
	v_add_co_u32_e32 v13, vcc, v14, v13
	v_addc_co_u32_e32 v12, vcc, v15, v12, vcc
	v_addc_co_u32_e32 v11, vcc, 0, v11, vcc
	v_add_co_u32_e32 v8, vcc, v12, v8
	v_addc_co_u32_e32 v11, vcc, 0, v11, vcc
	v_add_co_u32_e32 v8, vcc, v3, v8
	v_addc_co_u32_e32 v11, vcc, v4, v11, vcc
	v_mad_u64_u32 v[3:4], s[0:1], v9, v11, 0
	v_mul_hi_u32 v12, v9, v8
	v_add_co_u32_e32 v13, vcc, v12, v3
	v_addc_co_u32_e32 v14, vcc, 0, v4, vcc
	v_mad_u64_u32 v[3:4], s[0:1], v10, v8, 0
	v_mad_u64_u32 v[11:12], s[0:1], v10, v11, 0
	v_add_co_u32_e32 v3, vcc, v13, v3
	v_addc_co_u32_e32 v3, vcc, v14, v4, vcc
	v_addc_co_u32_e32 v4, vcc, 0, v12, vcc
	v_add_co_u32_e32 v8, vcc, v3, v11
	v_addc_co_u32_e32 v11, vcc, 0, v4, vcc
	v_mul_lo_u32 v12, s25, v8
	v_mul_lo_u32 v13, s24, v11
	v_mad_u64_u32 v[3:4], s[0:1], s24, v8, 0
	v_add3_u32 v4, v4, v13, v12
	v_sub_u32_e32 v12, v10, v4
	v_mov_b32_e32 v13, s25
	v_sub_co_u32_e32 v3, vcc, v9, v3
	v_subb_co_u32_e64 v12, s[0:1], v12, v13, vcc
	v_subrev_co_u32_e64 v13, s[0:1], s24, v3
	v_subbrev_co_u32_e64 v12, s[0:1], 0, v12, s[0:1]
	v_cmp_le_u32_e64 s[0:1], s25, v12
	v_cndmask_b32_e64 v14, 0, -1, s[0:1]
	v_cmp_le_u32_e64 s[0:1], s24, v13
	v_cndmask_b32_e64 v13, 0, -1, s[0:1]
	v_cmp_eq_u32_e64 s[0:1], s25, v12
	v_cndmask_b32_e64 v12, v14, v13, s[0:1]
	v_add_co_u32_e64 v13, s[0:1], 2, v8
	v_addc_co_u32_e64 v14, s[0:1], 0, v11, s[0:1]
	v_add_co_u32_e64 v15, s[0:1], 1, v8
	v_addc_co_u32_e64 v16, s[0:1], 0, v11, s[0:1]
	v_subb_co_u32_e32 v4, vcc, v10, v4, vcc
	v_cmp_ne_u32_e64 s[0:1], 0, v12
	v_cmp_le_u32_e32 vcc, s25, v4
	v_cndmask_b32_e64 v12, v16, v14, s[0:1]
	v_cndmask_b32_e64 v14, 0, -1, vcc
	v_cmp_le_u32_e32 vcc, s24, v3
	v_cndmask_b32_e64 v3, 0, -1, vcc
	v_cmp_eq_u32_e32 vcc, s25, v4
	v_cndmask_b32_e32 v3, v14, v3, vcc
	v_cmp_ne_u32_e32 vcc, 0, v3
	v_cndmask_b32_e64 v3, v15, v13, s[0:1]
	v_cndmask_b32_e32 v4, v11, v12, vcc
	v_cndmask_b32_e32 v3, v8, v3, vcc
.LBB0_4:                                ;   in Loop: Header=BB0_2 Depth=1
	s_andn2_saveexec_b64 s[0:1], s[26:27]
	s_cbranch_execz .LBB0_6
; %bb.5:                                ;   in Loop: Header=BB0_2 Depth=1
	v_cvt_f32_u32_e32 v3, s24
	s_sub_i32 s26, 0, s24
	v_rcp_iflag_f32_e32 v3, v3
	v_mul_f32_e32 v3, 0x4f7ffffe, v3
	v_cvt_u32_f32_e32 v3, v3
	v_mul_lo_u32 v4, s26, v3
	v_mul_hi_u32 v4, v3, v4
	v_add_u32_e32 v3, v3, v4
	v_mul_hi_u32 v3, v9, v3
	v_mul_lo_u32 v4, v3, s24
	v_add_u32_e32 v8, 1, v3
	v_sub_u32_e32 v4, v9, v4
	v_subrev_u32_e32 v11, s24, v4
	v_cmp_le_u32_e32 vcc, s24, v4
	v_cndmask_b32_e32 v4, v4, v11, vcc
	v_cndmask_b32_e32 v3, v3, v8, vcc
	v_add_u32_e32 v8, 1, v3
	v_cmp_le_u32_e32 vcc, s24, v4
	v_cndmask_b32_e32 v3, v3, v8, vcc
	v_mov_b32_e32 v4, v7
.LBB0_6:                                ;   in Loop: Header=BB0_2 Depth=1
	s_or_b64 exec, exec, s[0:1]
	v_mul_lo_u32 v8, v4, s24
	v_mul_lo_u32 v13, v3, s25
	v_mad_u64_u32 v[11:12], s[0:1], v3, s24, 0
	s_load_dwordx2 s[0:1], s[6:7], 0x0
	s_load_dwordx2 s[24:25], s[2:3], 0x0
	v_add3_u32 v8, v12, v13, v8
	v_sub_co_u32_e32 v9, vcc, v9, v11
	v_subb_co_u32_e32 v8, vcc, v10, v8, vcc
	s_waitcnt lgkmcnt(0)
	v_mul_lo_u32 v10, s0, v8
	v_mul_lo_u32 v11, s1, v9
	v_mad_u64_u32 v[5:6], s[0:1], s0, v9, v[5:6]
	v_mul_lo_u32 v8, s24, v8
	v_mul_lo_u32 v12, s25, v9
	v_mad_u64_u32 v[1:2], s[0:1], s24, v9, v[1:2]
	s_add_u32 s22, s22, 1
	s_addc_u32 s23, s23, 0
	s_add_u32 s2, s2, 8
	v_add3_u32 v2, v12, v2, v8
	s_addc_u32 s3, s3, 0
	v_mov_b32_e32 v8, s10
	s_add_u32 s6, s6, 8
	v_mov_b32_e32 v9, s11
	s_addc_u32 s7, s7, 0
	v_cmp_ge_u64_e32 vcc, s[22:23], v[8:9]
	s_add_u32 s20, s20, 8
	v_add3_u32 v6, v11, v6, v10
	s_addc_u32 s21, s21, 0
	s_cbranch_vccnz .LBB0_9
; %bb.7:                                ;   in Loop: Header=BB0_2 Depth=1
	v_mov_b32_e32 v10, v4
	v_mov_b32_e32 v9, v3
	s_branch .LBB0_2
.LBB0_8:
	v_mov_b32_e32 v1, v5
	v_mov_b32_e32 v3, v9
	;; [unrolled: 1-line block ×4, first 2 shown]
.LBB0_9:
	s_load_dwordx2 s[0:1], s[4:5], 0x28
	s_lshl_b64 s[6:7], s[10:11], 3
	s_add_u32 s2, s18, s6
	s_addc_u32 s3, s19, s7
                                        ; implicit-def: $vgpr45
	s_waitcnt lgkmcnt(0)
	v_cmp_gt_u64_e32 vcc, s[0:1], v[3:4]
	v_cmp_le_u64_e64 s[0:1], s[0:1], v[3:4]
	s_and_saveexec_b64 s[4:5], s[0:1]
	s_xor_b64 s[0:1], exec, s[4:5]
; %bb.10:
	s_mov_b32 s4, 0x4104105
	v_mul_hi_u32 v5, v0, s4
	v_mul_u32_u24_e32 v5, 63, v5
	v_sub_u32_e32 v45, v0, v5
                                        ; implicit-def: $vgpr0
                                        ; implicit-def: $vgpr5_vgpr6
; %bb.11:
	s_or_saveexec_b64 s[4:5], s[0:1]
                                        ; implicit-def: $vgpr13
                                        ; implicit-def: $vgpr35
                                        ; implicit-def: $vgpr17
                                        ; implicit-def: $vgpr33
                                        ; implicit-def: $vgpr15
                                        ; implicit-def: $vgpr31
                                        ; implicit-def: $vgpr9
                                        ; implicit-def: $vgpr29
                                        ; implicit-def: $vgpr27
                                        ; implicit-def: $vgpr21
                                        ; implicit-def: $vgpr11
                                        ; implicit-def: $vgpr19
                                        ; implicit-def: $vgpr7
                                        ; implicit-def: $vgpr25
                                        ; implicit-def: $vgpr23
	s_xor_b64 exec, exec, s[4:5]
	s_cbranch_execz .LBB0_13
; %bb.12:
	s_add_u32 s0, s16, s6
	s_addc_u32 s1, s17, s7
	s_load_dwordx2 s[0:1], s[0:1], 0x0
	s_mov_b32 s6, 0x4104105
	v_mul_hi_u32 v9, v0, s6
	v_lshlrev_b64 v[5:6], 3, v[5:6]
	s_waitcnt lgkmcnt(0)
	v_mul_lo_u32 v10, s1, v3
	v_mul_lo_u32 v11, s0, v4
	v_mad_u64_u32 v[7:8], s[0:1], s0, v3, 0
	v_mul_u32_u24_e32 v9, 63, v9
	v_sub_u32_e32 v45, v0, v9
	v_add3_u32 v8, v8, v11, v10
	v_lshlrev_b64 v[7:8], 3, v[7:8]
	v_mov_b32_e32 v0, s13
	v_add_co_u32_e64 v7, s[0:1], s12, v7
	v_addc_co_u32_e64 v0, s[0:1], v0, v8, s[0:1]
	v_add_co_u32_e64 v5, s[0:1], v7, v5
	v_addc_co_u32_e64 v0, s[0:1], v0, v6, s[0:1]
	v_lshlrev_b32_e32 v6, 3, v45
	v_add_co_u32_e64 v36, s[0:1], v5, v6
	v_addc_co_u32_e64 v37, s[0:1], 0, v0, s[0:1]
	s_movk_i32 s0, 0x1000
	v_add_co_u32_e64 v38, s[0:1], s0, v36
	v_addc_co_u32_e64 v39, s[0:1], 0, v37, s[0:1]
	global_load_dwordx2 v[14:15], v[36:37], off offset:3528
	global_load_dwordx2 v[12:13], v[36:37], off
	global_load_dwordx2 v[22:23], v[36:37], off offset:504
	global_load_dwordx2 v[6:7], v[36:37], off offset:1008
	;; [unrolled: 1-line block ×13, first 2 shown]
.LBB0_13:
	s_or_b64 exec, exec, s[4:5]
	s_waitcnt vmcnt(4)
	v_add_f32_e32 v5, v34, v16
	v_add_f32_e32 v0, v12, v34
	v_fmac_f32_e32 v12, -0.5, v5
	v_sub_f32_e32 v5, v35, v17
	v_mov_b32_e32 v36, v12
	v_add_f32_e32 v38, v32, v24
	v_add_f32_e32 v0, v0, v16
	v_fmac_f32_e32 v36, 0xbf5db3d7, v5
	v_add_f32_e32 v37, v32, v22
	v_fmac_f32_e32 v22, -0.5, v38
	v_mad_u32_u24 v38, v45, 12, 0
	ds_write2_b32 v38, v0, v36 offset1:1
	v_sub_f32_e32 v0, v33, v25
	v_mov_b32_e32 v36, v22
	v_add_f32_e32 v37, v24, v37
	v_fmac_f32_e32 v36, 0xbf5db3d7, v0
	ds_write2_b32 v38, v37, v36 offset0:189 offset1:190
	s_waitcnt vmcnt(2)
	v_add_f32_e32 v37, v14, v30
	v_add_f32_e32 v36, v14, v6
	v_fmac_f32_e32 v6, -0.5, v37
	v_sub_f32_e32 v37, v15, v31
	v_mov_b32_e32 v39, v6
	v_add_f32_e32 v36, v30, v36
	v_fmac_f32_e32 v39, 0xbf5db3d7, v37
	v_add_u32_e32 v44, 0x5e8, v38
	ds_write2_b32 v44, v36, v39 offset1:1
	s_waitcnt vmcnt(1)
	v_add_f32_e32 v39, v28, v18
	v_add_f32_e32 v36, v8, v18
	v_fmac_f32_e32 v8, -0.5, v39
	v_sub_f32_e32 v39, v19, v29
	v_mov_b32_e32 v40, v8
	v_add_f32_e32 v36, v28, v36
	v_fmac_f32_e32 v40, 0xbf5db3d7, v39
	v_add_u32_e32 v46, 0x8dc, v38
	ds_write2_b32 v46, v36, v40 offset1:1
	s_waitcnt vmcnt(0)
	v_add_f32_e32 v40, v26, v20
	v_add_f32_e32 v36, v20, v10
	v_fmac_f32_e32 v10, -0.5, v40
	v_sub_f32_e32 v40, v21, v27
	v_mov_b32_e32 v41, v10
	v_add_f32_e32 v36, v26, v36
	v_fmac_f32_e32 v41, 0xbf5db3d7, v40
	v_add_u32_e32 v47, 0xbd0, v38
	v_fmac_f32_e32 v12, 0x3f5db3d7, v5
	v_add_f32_e32 v5, v35, v17
	v_fmac_f32_e32 v22, 0x3f5db3d7, v0
	v_add_f32_e32 v0, v33, v25
	ds_write2_b32 v47, v36, v41 offset1:1
	v_add_f32_e32 v36, v13, v35
	v_fmac_f32_e32 v13, -0.5, v5
	v_sub_f32_e32 v56, v34, v16
	v_add_f32_e32 v57, v33, v23
	v_fmac_f32_e32 v23, -0.5, v0
	v_sub_f32_e32 v24, v32, v24
	v_fmac_f32_e32 v6, 0x3f5db3d7, v37
	v_fmac_f32_e32 v8, 0x3f5db3d7, v39
	ds_write2_b32 v38, v12, v22 offset0:2 offset1:191
	v_add_u32_e32 v22, 0x500, v38
	v_lshlrev_b32_e32 v0, 3, v45
	v_add_f32_e32 v12, v15, v31
	s_load_dwordx2 s[2:3], s[2:3], 0x0
	v_fmac_f32_e32 v10, 0x3f5db3d7, v40
	v_mov_b32_e32 v32, v13
	v_fmac_f32_e32 v13, 0xbf5db3d7, v56
	v_mov_b32_e32 v37, v23
	v_fmac_f32_e32 v23, 0xbf5db3d7, v24
	ds_write2_b32 v22, v6, v8 offset0:60 offset1:249
	ds_write_b32 v38, v10 offset:3032
	v_sub_u32_e32 v0, v38, v0
	v_add_f32_e32 v6, v15, v7
	v_fmac_f32_e32 v7, -0.5, v12
	s_waitcnt lgkmcnt(0)
	; wave barrier
	s_waitcnt lgkmcnt(0)
	v_add_u32_e32 v5, 0x200, v0
	v_add_u32_e32 v16, 0x800, v0
	;; [unrolled: 1-line block ×5, first 2 shown]
	ds_read_b32 v58, v0 offset:3528
	ds_read2_b32 v[33:34], v0 offset1:63
	ds_read2_b32 v[40:41], v5 offset0:124 offset1:187
	ds_read2_b32 v[42:43], v16 offset0:118 offset1:181
	;; [unrolled: 1-line block ×6, first 2 shown]
	s_waitcnt lgkmcnt(0)
	; wave barrier
	s_waitcnt lgkmcnt(0)
	ds_write2_b32 v38, v13, v23 offset0:2 offset1:191
	v_sub_f32_e32 v13, v14, v30
	v_mov_b32_e32 v12, v7
	v_add_f32_e32 v6, v31, v6
	v_fmac_f32_e32 v12, 0x3f5db3d7, v13
	ds_write2_b32 v44, v6, v12 offset1:1
	v_add_f32_e32 v12, v29, v19
	v_add_f32_e32 v6, v9, v19
	v_fmac_f32_e32 v9, -0.5, v12
	v_sub_f32_e32 v14, v18, v28
	v_mov_b32_e32 v12, v9
	v_add_f32_e32 v6, v29, v6
	v_fmac_f32_e32 v12, 0x3f5db3d7, v14
	ds_write2_b32 v46, v6, v12 offset1:1
	v_add_f32_e32 v6, v36, v17
	v_add_f32_e32 v17, v27, v21
	;; [unrolled: 1-line block ×3, first 2 shown]
	v_fmac_f32_e32 v32, 0x3f5db3d7, v56
	v_fmac_f32_e32 v11, -0.5, v17
	v_sub_f32_e32 v18, v20, v26
	ds_write2_b32 v38, v6, v32 offset1:1
	v_mov_b32_e32 v6, v11
	v_add_f32_e32 v15, v25, v57
	v_add_f32_e32 v19, v27, v12
	v_fmac_f32_e32 v37, 0x3f5db3d7, v24
	v_fmac_f32_e32 v6, 0x3f5db3d7, v18
	v_add_u32_e32 v12, 0xfc, v45
	s_mov_b32 s0, 0xaaab
	v_fmac_f32_e32 v7, 0xbf5db3d7, v13
	v_fmac_f32_e32 v9, 0xbf5db3d7, v14
	;; [unrolled: 1-line block ×3, first 2 shown]
	ds_write2_b32 v38, v15, v37 offset0:189 offset1:190
	ds_write2_b32 v22, v7, v9 offset0:60 offset1:249
	ds_write2_b32 v47, v19, v6 offset1:1
	ds_write_b32 v38, v11 offset:3032
	v_mul_u32_u24_sdwa v6, v12, s0 dst_sel:DWORD dst_unused:UNUSED_PAD src0_sel:WORD_0 src1_sel:DWORD
	v_lshrrev_b32_e32 v9, 17, v6
	v_mul_lo_u16_e32 v6, 3, v9
	v_sub_u16_e32 v11, v12, v6
	v_lshlrev_b32_e32 v6, 4, v11
	s_waitcnt lgkmcnt(0)
	; wave barrier
	s_waitcnt lgkmcnt(0)
	global_load_dwordx4 v[17:20], v6, s[8:9]
	s_movk_i32 s0, 0xab
	v_add_u16_e32 v56, 0xbd, v45
	v_mul_lo_u16_sdwa v6, v56, s0 dst_sel:DWORD dst_unused:UNUSED_PAD src0_sel:BYTE_0 src1_sel:DWORD
	v_lshrrev_b16_e32 v57, 9, v6
	v_mul_lo_u16_e32 v6, 3, v57
	v_mov_b32_e32 v44, 4
	v_sub_u16_e32 v59, v56, v6
	v_lshlrev_b32_sdwa v6, v44, v59 dst_sel:DWORD dst_unused:UNUSED_PAD src0_sel:DWORD src1_sel:BYTE_0
	v_add_u32_e32 v46, 0x7e, v45
	global_load_dwordx4 v[21:24], v6, s[8:9]
	v_mul_lo_u16_sdwa v6, v46, s0 dst_sel:DWORD dst_unused:UNUSED_PAD src0_sel:BYTE_0 src1_sel:DWORD
	v_lshrrev_b16_e32 v60, 9, v6
	v_mul_lo_u16_e32 v6, 3, v60
	v_sub_u16_e32 v61, v46, v6
	v_lshlrev_b32_sdwa v6, v44, v61 dst_sel:DWORD dst_unused:UNUSED_PAD src0_sel:DWORD src1_sel:BYTE_0
	v_add_u32_e32 v47, 63, v45
	global_load_dwordx4 v[25:28], v6, s[8:9]
	v_mul_lo_u16_sdwa v6, v47, s0 dst_sel:DWORD dst_unused:UNUSED_PAD src0_sel:BYTE_0 src1_sel:DWORD
	v_lshrrev_b16_e32 v62, 9, v6
	v_mul_lo_u16_e32 v6, 3, v62
	v_sub_u16_e32 v63, v47, v6
	v_lshlrev_b32_sdwa v6, v44, v63 dst_sel:DWORD dst_unused:UNUSED_PAD src0_sel:DWORD src1_sel:BYTE_0
	global_load_dwordx4 v[29:32], v6, s[8:9]
	v_mul_lo_u16_sdwa v6, v45, s0 dst_sel:DWORD dst_unused:UNUSED_PAD src0_sel:BYTE_0 src1_sel:DWORD
	v_lshrrev_b16_e32 v64, 9, v6
	v_mul_lo_u16_e32 v6, 3, v64
	v_sub_u16_e32 v65, v45, v6
	v_lshlrev_b32_sdwa v6, v44, v65 dst_sel:DWORD dst_unused:UNUSED_PAD src0_sel:DWORD src1_sel:BYTE_0
	global_load_dwordx4 v[36:39], v6, s[8:9]
	ds_read2_b32 v[6:7], v8 offset0:120 offset1:183
	ds_read_b32 v13, v0 offset:3528
	v_mul_u32_u24_e32 v9, 36, v9
	v_lshlrev_b32_e32 v11, 2, v11
	v_add3_u32 v9, 0, v9, v11
	s_mov_b32 s0, 0xe38f
	s_waitcnt vmcnt(4) lgkmcnt(0)
	v_mul_f32_e32 v67, v13, v20
	v_mul_f32_e32 v14, v58, v20
	;; [unrolled: 1-line block ×3, first 2 shown]
	v_fmac_f32_e32 v67, v58, v19
	v_fma_f32 v58, v13, v19, -v14
	v_mul_f32_e32 v13, v55, v18
	v_fmac_f32_e32 v66, v55, v17
	v_fma_f32 v55, v7, v17, -v13
	ds_read2_b32 v[13:14], v10 offset0:116 offset1:179
	v_mul_u32_u24_e32 v17, 36, v64
	s_waitcnt vmcnt(3)
	v_mul_f32_e32 v68, v6, v22
	v_mul_f32_e32 v7, v54, v22
	v_fmac_f32_e32 v68, v54, v21
	v_fma_f32 v21, v6, v21, -v7
	s_waitcnt lgkmcnt(0)
	v_mul_f32_e32 v22, v14, v24
	v_mul_f32_e32 v6, v53, v24
	v_fmac_f32_e32 v22, v53, v23
	v_fma_f32 v23, v14, v23, -v6
	ds_read2_b32 v[6:7], v35 offset0:122 offset1:185
	s_waitcnt vmcnt(2)
	v_mul_f32_e32 v24, v13, v28
	v_mul_f32_e32 v14, v52, v28
	v_fmac_f32_e32 v24, v52, v27
	v_fma_f32 v27, v13, v27, -v14
	v_mul_f32_e32 v13, v49, v26
	s_waitcnt lgkmcnt(0)
	v_mul_f32_e32 v28, v7, v26
	v_fma_f32 v7, v7, v25, -v13
	ds_read2_b32 v[13:14], v16 offset0:118 offset1:181
	s_waitcnt vmcnt(1)
	v_mul_f32_e32 v15, v48, v30
	v_fmac_f32_e32 v28, v49, v25
	v_mul_f32_e32 v25, v6, v30
	v_fma_f32 v26, v6, v29, -v15
	v_mul_f32_e32 v6, v43, v32
	v_fmac_f32_e32 v25, v48, v29
	s_waitcnt lgkmcnt(0)
	v_mul_f32_e32 v29, v14, v32
	v_fma_f32 v30, v14, v31, -v6
	ds_read2_b32 v[14:15], v5 offset0:124 offset1:187
	s_waitcnt vmcnt(0)
	v_mul_f32_e32 v6, v42, v39
	v_fmac_f32_e32 v29, v43, v31
	v_mul_f32_e32 v31, v13, v39
	v_fma_f32 v13, v13, v38, -v6
	v_mul_f32_e32 v6, v41, v37
	s_waitcnt lgkmcnt(0)
	v_mul_f32_e32 v32, v15, v37
	v_fma_f32 v15, v15, v36, -v6
	v_mov_b32_e32 v6, 2
	v_fmac_f32_e32 v32, v41, v36
	v_lshlrev_b32_sdwa v18, v6, v65 dst_sel:DWORD dst_unused:UNUSED_PAD src0_sel:DWORD src1_sel:BYTE_0
	v_fmac_f32_e32 v31, v42, v38
	v_add3_u32 v52, 0, v17, v18
	v_add_f32_e32 v17, v33, v32
	v_add_f32_e32 v36, v17, v31
	;; [unrolled: 1-line block ×3, first 2 shown]
	v_fma_f32 v33, -0.5, v17, v33
	v_sub_f32_e32 v37, v15, v13
	v_mov_b32_e32 v38, v33
	v_fmac_f32_e32 v38, 0xbf5db3d7, v37
	v_fmac_f32_e32 v33, 0x3f5db3d7, v37
	v_add_f32_e32 v37, v25, v29
	ds_read2_b32 v[17:18], v0 offset1:63
	ds_read2_b32 v[19:20], v0 offset0:126 offset1:189
	s_waitcnt lgkmcnt(0)
	; wave barrier
	s_waitcnt lgkmcnt(0)
	ds_write2_b32 v52, v36, v38 offset1:3
	v_add_f32_e32 v36, v34, v25
	v_fmac_f32_e32 v34, -0.5, v37
	ds_write_b32 v52, v33 offset:24
	v_mul_u32_u24_e32 v33, 36, v62
	v_lshlrev_b32_sdwa v37, v6, v63 dst_sel:DWORD dst_unused:UNUSED_PAD src0_sel:DWORD src1_sel:BYTE_0
	v_add3_u32 v53, 0, v33, v37
	v_add_f32_e32 v33, v36, v29
	v_sub_f32_e32 v36, v26, v30
	v_mov_b32_e32 v37, v34
	v_fmac_f32_e32 v37, 0xbf5db3d7, v36
	v_fmac_f32_e32 v34, 0x3f5db3d7, v36
	ds_write2_b32 v53, v33, v37 offset1:3
	ds_write_b32 v53, v34 offset:24
	v_mul_u32_u24_e32 v33, 36, v60
	v_lshlrev_b32_sdwa v34, v6, v61 dst_sel:DWORD dst_unused:UNUSED_PAD src0_sel:DWORD src1_sel:BYTE_0
	v_add3_u32 v54, 0, v33, v34
	v_add_f32_e32 v34, v28, v24
	v_fma_f32 v34, -0.5, v34, v50
	v_add_f32_e32 v33, v50, v28
	v_sub_f32_e32 v36, v7, v27
	v_mov_b32_e32 v37, v34
	v_add_f32_e32 v33, v33, v24
	v_fmac_f32_e32 v37, 0xbf5db3d7, v36
	v_fmac_f32_e32 v34, 0x3f5db3d7, v36
	v_add_f32_e32 v36, v68, v22
	ds_write2_b32 v54, v33, v37 offset1:3
	v_add_f32_e32 v33, v51, v68
	v_fmac_f32_e32 v51, -0.5, v36
	ds_write_b32 v54, v34 offset:24
	v_mul_u32_u24_e32 v34, 36, v57
	v_lshlrev_b32_sdwa v36, v6, v59 dst_sel:DWORD dst_unused:UNUSED_PAD src0_sel:DWORD src1_sel:BYTE_0
	v_add3_u32 v57, 0, v34, v36
	v_sub_f32_e32 v34, v21, v23
	v_mov_b32_e32 v36, v51
	v_add_f32_e32 v33, v33, v22
	v_fmac_f32_e32 v36, 0xbf5db3d7, v34
	v_fmac_f32_e32 v51, 0x3f5db3d7, v34
	v_add_f32_e32 v34, v66, v67
	ds_write2_b32 v57, v33, v36 offset1:3
	v_add_f32_e32 v33, v40, v66
	v_fmac_f32_e32 v40, -0.5, v34
	v_add_f32_e32 v11, v33, v67
	v_sub_f32_e32 v33, v55, v58
	v_mov_b32_e32 v34, v40
	v_fmac_f32_e32 v34, 0xbf5db3d7, v33
	ds_write_b32 v57, v51 offset:24
	ds_write2_b32 v9, v11, v34 offset1:3
	v_add_f32_e32 v11, v17, v15
	v_add_f32_e32 v11, v11, v13
	v_add_f32_e32 v13, v15, v13
	v_sub_f32_e32 v15, v32, v31
	v_fma_f32 v13, -0.5, v13, v17
	v_fmac_f32_e32 v40, 0x3f5db3d7, v33
	v_mov_b32_e32 v17, v13
	v_fmac_f32_e32 v13, 0xbf5db3d7, v15
	ds_write_b32 v9, v40 offset:24
	v_fmac_f32_e32 v17, 0x3f5db3d7, v15
	s_waitcnt lgkmcnt(0)
	; wave barrier
	s_waitcnt lgkmcnt(0)
	ds_read_b32 v59, v0 offset:3528
	ds_read2_b32 v[33:34], v0 offset1:63
	ds_read2_b32 v[36:37], v5 offset0:124 offset1:187
	ds_read2_b32 v[38:39], v16 offset0:118 offset1:181
	;; [unrolled: 1-line block ×6, first 2 shown]
	s_waitcnt lgkmcnt(0)
	; wave barrier
	s_waitcnt lgkmcnt(0)
	ds_write_b32 v52, v13 offset:24
	v_add_f32_e32 v13, v26, v30
	ds_write2_b32 v52, v11, v17 offset1:3
	v_add_f32_e32 v11, v18, v26
	v_fmac_f32_e32 v18, -0.5, v13
	v_sub_f32_e32 v13, v25, v29
	v_mov_b32_e32 v15, v18
	v_add_f32_e32 v11, v11, v30
	v_fmac_f32_e32 v15, 0x3f5db3d7, v13
	ds_write2_b32 v53, v11, v15 offset1:3
	v_add_f32_e32 v11, v19, v7
	v_add_f32_e32 v7, v7, v27
	v_fma_f32 v7, -0.5, v7, v19
	v_fmac_f32_e32 v18, 0xbf5db3d7, v13
	v_sub_f32_e32 v13, v28, v24
	v_mov_b32_e32 v15, v7
	v_add_f32_e32 v11, v11, v27
	v_fmac_f32_e32 v15, 0x3f5db3d7, v13
	ds_write_b32 v53, v18 offset:24
	ds_write2_b32 v54, v11, v15 offset1:3
	v_fmac_f32_e32 v7, 0xbf5db3d7, v13
	v_add_f32_e32 v11, v21, v23
	ds_write_b32 v54, v7 offset:24
	v_add_f32_e32 v7, v20, v21
	v_fmac_f32_e32 v20, -0.5, v11
	v_sub_f32_e32 v11, v68, v22
	v_mov_b32_e32 v13, v20
	v_add_f32_e32 v7, v7, v23
	v_fmac_f32_e32 v13, 0x3f5db3d7, v11
	v_fmac_f32_e32 v20, 0xbf5db3d7, v11
	v_add_f32_e32 v11, v55, v58
	ds_write2_b32 v57, v7, v13 offset1:3
	v_add_f32_e32 v7, v14, v55
	v_fmac_f32_e32 v14, -0.5, v11
	v_add_f32_e32 v7, v7, v58
	v_sub_f32_e32 v11, v66, v67
	v_mov_b32_e32 v13, v14
	v_fmac_f32_e32 v13, 0x3f5db3d7, v11
	v_fmac_f32_e32 v14, 0xbf5db3d7, v11
	ds_write_b32 v57, v20 offset:24
	ds_write2_b32 v9, v7, v13 offset1:3
	ds_write_b32 v9, v14 offset:24
	v_mul_u32_u24_sdwa v7, v12, s0 dst_sel:DWORD dst_unused:UNUSED_PAD src0_sel:WORD_0 src1_sel:DWORD
	v_lshrrev_b32_e32 v7, 19, v7
	v_mul_lo_u16_e32 v9, 9, v7
	v_sub_u16_e32 v9, v12, v9
	v_lshlrev_b32_e32 v11, 4, v9
	s_waitcnt lgkmcnt(0)
	; wave barrier
	s_waitcnt lgkmcnt(0)
	global_load_dwordx4 v[11:14], v11, s[8:9] offset:48
	v_mov_b32_e32 v15, 57
	v_mul_lo_u16_sdwa v17, v56, v15 dst_sel:DWORD dst_unused:UNUSED_PAD src0_sel:BYTE_0 src1_sel:DWORD
	v_lshrrev_b16_e32 v54, 9, v17
	v_mul_lo_u16_e32 v17, 9, v54
	v_sub_u16_e32 v55, v56, v17
	v_lshlrev_b32_sdwa v17, v44, v55 dst_sel:DWORD dst_unused:UNUSED_PAD src0_sel:DWORD src1_sel:BYTE_0
	global_load_dwordx4 v[17:20], v17, s[8:9] offset:48
	v_mul_lo_u16_sdwa v21, v46, v15 dst_sel:DWORD dst_unused:UNUSED_PAD src0_sel:BYTE_0 src1_sel:DWORD
	v_lshrrev_b16_e32 v56, 9, v21
	v_mul_lo_u16_e32 v21, 9, v56
	v_sub_u16_e32 v57, v46, v21
	v_lshlrev_b32_sdwa v21, v44, v57 dst_sel:DWORD dst_unused:UNUSED_PAD src0_sel:DWORD src1_sel:BYTE_0
	global_load_dwordx4 v[21:24], v21, s[8:9] offset:48
	;; [unrolled: 6-line block ×4, first 2 shown]
	ds_read_b32 v44, v0 offset:3528
	ds_read2_b32 v[52:53], v8 offset0:120 offset1:183
	v_mul_u32_u24_e32 v7, 0x6c, v7
	v_lshlrev_b32_e32 v9, 2, v9
	v_add3_u32 v7, 0, v7, v9
	v_cmp_gt_u32_e64 s[0:1], 9, v45
	s_waitcnt vmcnt(4) lgkmcnt(1)
	v_mul_f32_e32 v68, v44, v14
	v_fmac_f32_e32 v68, v59, v13
	v_mul_f32_e32 v14, v59, v14
	s_waitcnt lgkmcnt(0)
	v_mul_f32_e32 v59, v53, v12
	v_mul_f32_e32 v12, v51, v12
	v_fmac_f32_e32 v59, v51, v11
	v_fma_f32 v51, v53, v11, -v12
	ds_read2_b32 v[11:12], v10 offset0:116 offset1:179
	v_fma_f32 v44, v44, v13, -v14
	s_waitcnt vmcnt(3)
	v_mul_f32_e32 v53, v52, v18
	v_mul_f32_e32 v13, v50, v18
	v_fmac_f32_e32 v53, v50, v17
	v_fma_f32 v17, v52, v17, -v13
	s_waitcnt lgkmcnt(0)
	v_mul_f32_e32 v18, v12, v20
	v_mul_f32_e32 v13, v49, v20
	v_fmac_f32_e32 v18, v49, v19
	v_fma_f32 v19, v12, v19, -v13
	ds_read2_b32 v[12:13], v35 offset0:122 offset1:185
	s_waitcnt vmcnt(2)
	v_mul_f32_e32 v20, v11, v24
	v_mul_f32_e32 v14, v48, v24
	v_fmac_f32_e32 v20, v48, v23
	v_fma_f32 v23, v11, v23, -v14
	s_waitcnt lgkmcnt(0)
	v_mul_f32_e32 v24, v13, v22
	v_mul_f32_e32 v11, v41, v22
	v_fmac_f32_e32 v24, v41, v21
	v_fma_f32 v21, v13, v21, -v11
	ds_read2_b32 v[13:14], v16 offset0:118 offset1:181
	;; [unrolled: 11-line block ×3, first 2 shown]
	s_waitcnt vmcnt(0)
	v_mul_f32_e32 v28, v13, v32
	v_mul_f32_e32 v14, v38, v32
	v_fmac_f32_e32 v28, v38, v31
	v_fma_f32 v31, v13, v31, -v14
	s_waitcnt lgkmcnt(0)
	v_mul_f32_e32 v32, v12, v30
	v_mul_f32_e32 v13, v37, v30
	v_fmac_f32_e32 v32, v37, v29
	v_fma_f32 v29, v12, v29, -v13
	v_mul_u32_u24_e32 v12, 0x6c, v15
	v_lshlrev_b32_sdwa v13, v6, v61 dst_sel:DWORD dst_unused:UNUSED_PAD src0_sel:DWORD src1_sel:BYTE_0
	v_add3_u32 v40, 0, v12, v13
	v_add_f32_e32 v12, v33, v32
	v_add_f32_e32 v30, v12, v28
	;; [unrolled: 1-line block ×3, first 2 shown]
	v_fma_f32 v33, -0.5, v12, v33
	v_sub_f32_e32 v37, v29, v31
	v_mov_b32_e32 v38, v33
	v_fmac_f32_e32 v38, 0xbf5db3d7, v37
	v_fmac_f32_e32 v33, 0x3f5db3d7, v37
	v_add_f32_e32 v37, v22, v26
	ds_read2_b32 v[12:13], v0 offset1:63
	ds_read2_b32 v[14:15], v0 offset0:126 offset1:189
	s_waitcnt lgkmcnt(0)
	; wave barrier
	s_waitcnt lgkmcnt(0)
	ds_write2_b32 v40, v30, v38 offset1:9
	v_add_f32_e32 v30, v34, v22
	v_fmac_f32_e32 v34, -0.5, v37
	ds_write_b32 v40, v33 offset:72
	v_mul_u32_u24_e32 v33, 0x6c, v58
	v_lshlrev_b32_sdwa v37, v6, v60 dst_sel:DWORD dst_unused:UNUSED_PAD src0_sel:DWORD src1_sel:BYTE_0
	v_add3_u32 v33, 0, v33, v37
	v_sub_f32_e32 v37, v25, v27
	v_mov_b32_e32 v38, v34
	v_add_f32_e32 v30, v30, v26
	v_fmac_f32_e32 v38, 0xbf5db3d7, v37
	v_fmac_f32_e32 v34, 0x3f5db3d7, v37
	v_add_f32_e32 v37, v24, v20
	ds_write2_b32 v33, v30, v38 offset1:9
	ds_write_b32 v33, v34 offset:72
	v_mul_u32_u24_e32 v30, 0x6c, v56
	v_lshlrev_b32_sdwa v34, v6, v57 dst_sel:DWORD dst_unused:UNUSED_PAD src0_sel:DWORD src1_sel:BYTE_0
	v_fma_f32 v37, -0.5, v37, v42
	v_add3_u32 v34, 0, v30, v34
	v_add_f32_e32 v30, v42, v24
	v_sub_f32_e32 v38, v21, v23
	v_mov_b32_e32 v39, v37
	v_add_f32_e32 v30, v30, v20
	v_fmac_f32_e32 v39, 0xbf5db3d7, v38
	v_fmac_f32_e32 v37, 0x3f5db3d7, v38
	v_add_f32_e32 v38, v53, v18
	ds_write2_b32 v34, v30, v39 offset1:9
	v_add_f32_e32 v30, v43, v53
	v_fmac_f32_e32 v43, -0.5, v38
	ds_write_b32 v34, v37 offset:72
	v_mul_u32_u24_e32 v37, 0x6c, v54
	v_lshlrev_b32_sdwa v38, v6, v55 dst_sel:DWORD dst_unused:UNUSED_PAD src0_sel:DWORD src1_sel:BYTE_0
	v_add3_u32 v41, 0, v37, v38
	v_sub_f32_e32 v37, v17, v19
	v_mov_b32_e32 v38, v43
	v_add_f32_e32 v30, v30, v18
	v_fmac_f32_e32 v38, 0xbf5db3d7, v37
	v_fmac_f32_e32 v43, 0x3f5db3d7, v37
	v_add_f32_e32 v37, v59, v68
	ds_write2_b32 v41, v30, v38 offset1:9
	v_add_f32_e32 v30, v36, v59
	v_fmac_f32_e32 v36, -0.5, v37
	v_add_f32_e32 v9, v30, v68
	v_sub_f32_e32 v30, v51, v44
	v_mov_b32_e32 v37, v36
	v_fmac_f32_e32 v37, 0xbf5db3d7, v30
	ds_write_b32 v41, v43 offset:72
	ds_write2_b32 v7, v9, v37 offset1:9
	v_add_f32_e32 v9, v12, v29
	v_add_f32_e32 v29, v29, v31
	v_sub_f32_e32 v28, v32, v28
	v_fma_f32 v12, -0.5, v29, v12
	v_fmac_f32_e32 v36, 0x3f5db3d7, v30
	v_add_f32_e32 v9, v9, v31
	v_mov_b32_e32 v31, v12
	v_fmac_f32_e32 v12, 0xbf5db3d7, v28
	ds_write_b32 v7, v36 offset:72
	v_fmac_f32_e32 v31, 0x3f5db3d7, v28
	s_waitcnt lgkmcnt(0)
	; wave barrier
	s_waitcnt lgkmcnt(0)
	ds_read_b32 v50, v0 offset:3528
	ds_read2_b32 v[29:30], v0 offset1:63
	ds_read2_b32 v[62:63], v0 offset0:126 offset1:189
	ds_read2_b32 v[64:65], v35 offset0:122 offset1:185
	;; [unrolled: 1-line block ×6, first 2 shown]
	s_waitcnt lgkmcnt(0)
	; wave barrier
	s_waitcnt lgkmcnt(0)
	ds_write_b32 v40, v12 offset:72
	v_add_f32_e32 v12, v25, v27
	ds_write2_b32 v40, v9, v31 offset1:9
	v_add_f32_e32 v9, v13, v25
	v_fmac_f32_e32 v13, -0.5, v12
	v_sub_f32_e32 v12, v22, v26
	v_mov_b32_e32 v22, v13
	v_fmac_f32_e32 v22, 0x3f5db3d7, v12
	v_fmac_f32_e32 v13, 0xbf5db3d7, v12
	v_add_f32_e32 v12, v21, v23
	v_add_f32_e32 v9, v9, v27
	ds_write_b32 v33, v13 offset:72
	v_sub_f32_e32 v13, v24, v20
	v_fma_f32 v12, -0.5, v12, v14
	ds_write2_b32 v33, v9, v22 offset1:9
	v_add_f32_e32 v9, v14, v21
	v_mov_b32_e32 v14, v12
	v_fmac_f32_e32 v12, 0xbf5db3d7, v13
	v_add_f32_e32 v9, v9, v23
	v_fmac_f32_e32 v14, 0x3f5db3d7, v13
	ds_write_b32 v34, v12 offset:72
	v_add_f32_e32 v12, v17, v19
	ds_write2_b32 v34, v9, v14 offset1:9
	v_add_f32_e32 v9, v15, v17
	v_fmac_f32_e32 v15, -0.5, v12
	v_sub_f32_e32 v12, v53, v18
	v_mov_b32_e32 v13, v15
	v_add_f32_e32 v14, v51, v44
	v_fmac_f32_e32 v13, 0x3f5db3d7, v12
	v_fmac_f32_e32 v15, 0xbf5db3d7, v12
	v_add_f32_e32 v12, v11, v51
	v_fmac_f32_e32 v11, -0.5, v14
	v_add_f32_e32 v9, v9, v19
	v_sub_f32_e32 v14, v59, v68
	v_mov_b32_e32 v17, v11
	v_add_f32_e32 v12, v12, v44
	v_fmac_f32_e32 v17, 0x3f5db3d7, v14
	v_fmac_f32_e32 v11, 0xbf5db3d7, v14
	ds_write2_b32 v41, v9, v13 offset1:9
	ds_write_b32 v41, v15 offset:72
	ds_write2_b32 v7, v12, v17 offset1:9
	ds_write_b32 v7, v11 offset:72
	v_mov_b32_e32 v7, 19
	v_mul_lo_u16_sdwa v11, v46, v7 dst_sel:DWORD dst_unused:UNUSED_PAD src0_sel:BYTE_0 src1_sel:DWORD
	v_lshrrev_b16_e32 v68, 9, v11
	v_mul_lo_u16_e32 v11, 27, v68
	v_mov_b32_e32 v9, 5
	v_sub_u16_e32 v69, v46, v11
	v_lshlrev_b32_sdwa v15, v9, v69 dst_sel:DWORD dst_unused:UNUSED_PAD src0_sel:DWORD src1_sel:BYTE_0
	s_waitcnt lgkmcnt(0)
	; wave barrier
	s_waitcnt lgkmcnt(0)
	global_load_dwordx4 v[11:14], v15, s[8:9] offset:208
	v_mul_lo_u16_sdwa v17, v47, v7 dst_sel:DWORD dst_unused:UNUSED_PAD src0_sel:BYTE_0 src1_sel:DWORD
	v_lshrrev_b16_e32 v70, 9, v17
	v_mul_lo_u16_e32 v17, 27, v70
	v_sub_u16_e32 v71, v47, v17
	v_lshlrev_b32_sdwa v31, v9, v71 dst_sel:DWORD dst_unused:UNUSED_PAD src0_sel:DWORD src1_sel:BYTE_0
	global_load_dwordx4 v[17:20], v31, s[8:9] offset:208
	v_mul_lo_u16_sdwa v7, v45, v7 dst_sel:DWORD dst_unused:UNUSED_PAD src0_sel:BYTE_0 src1_sel:DWORD
	v_lshrrev_b16_e32 v7, 9, v7
	v_mul_lo_u16_e32 v21, 27, v7
	v_sub_u16_e32 v72, v45, v21
	v_lshlrev_b32_sdwa v9, v9, v72 dst_sel:DWORD dst_unused:UNUSED_PAD src0_sel:DWORD src1_sel:BYTE_0
	global_load_dwordx4 v[21:24], v9, s[8:9] offset:208
	global_load_dwordx4 v[25:28], v15, s[8:9] offset:192
	;; [unrolled: 1-line block ×4, first 2 shown]
	ds_read_b32 v9, v0 offset:3528
	ds_read2_b32 v[48:49], v16 offset0:118 offset1:181
	v_mul_u32_u24_e32 v7, 0x21c, v7
	s_waitcnt vmcnt(5) lgkmcnt(1)
	v_mul_f32_e32 v32, v9, v14
	v_mul_f32_e32 v14, v50, v14
	v_fmac_f32_e32 v32, v50, v13
	v_fma_f32 v15, v9, v13, -v14
	s_waitcnt lgkmcnt(0)
	v_mul_f32_e32 v33, v49, v12
	v_mul_f32_e32 v9, v39, v12
	ds_read2_b32 v[12:13], v10 offset0:116 offset1:179
	v_fma_f32 v31, v49, v11, -v9
	s_waitcnt vmcnt(4)
	v_mul_f32_e32 v9, v38, v18
	v_fmac_f32_e32 v33, v39, v11
	v_fma_f32 v11, v48, v17, -v9
	s_waitcnt lgkmcnt(0)
	v_mul_f32_e32 v41, v13, v20
	v_mul_f32_e32 v9, v37, v20
	;; [unrolled: 1-line block ×3, first 2 shown]
	v_fmac_f32_e32 v41, v37, v19
	v_fma_f32 v37, v13, v19, -v9
	ds_read2_b32 v[13:14], v8 offset0:120 offset1:183
	v_fmac_f32_e32 v40, v38, v17
	ds_read2_b32 v[17:18], v5 offset0:124 offset1:187
	s_waitcnt vmcnt(2)
	v_mul_f32_e32 v5, v42, v28
	v_mul_f32_e32 v52, v12, v24
	s_waitcnt lgkmcnt(1)
	v_fma_f32 v34, v13, v27, -v5
	v_mul_f32_e32 v5, v67, v26
	v_fmac_f32_e32 v52, v36, v23
	v_mul_f32_e32 v9, v36, v24
	s_waitcnt lgkmcnt(0)
	v_mul_f32_e32 v39, v18, v26
	v_fma_f32 v36, v18, v25, -v5
	ds_read2_b32 v[18:19], v35 offset0:122 offset1:185
	v_fma_f32 v44, v12, v23, -v9
	v_mul_f32_e32 v38, v13, v28
	ds_read2_b32 v[12:13], v0 offset0:126 offset1:189
	s_waitcnt vmcnt(1)
	v_mul_f32_e32 v5, v66, v55
	v_mul_f32_e32 v53, v14, v22
	v_fmac_f32_e32 v38, v42, v27
	v_fma_f32 v42, v17, v54, -v5
	s_waitcnt lgkmcnt(1)
	v_mul_f32_e32 v51, v19, v57
	v_mul_f32_e32 v5, v65, v57
	v_fmac_f32_e32 v53, v43, v21
	v_mul_f32_e32 v9, v43, v22
	v_mul_f32_e32 v50, v17, v55
	v_fmac_f32_e32 v51, v65, v56
	v_fma_f32 v43, v19, v56, -v5
	s_waitcnt vmcnt(0)
	v_mul_f32_e32 v56, v18, v61
	v_mul_f32_e32 v5, v64, v61
	s_waitcnt lgkmcnt(0)
	v_mul_f32_e32 v57, v13, v59
	v_fmac_f32_e32 v50, v66, v54
	v_fmac_f32_e32 v56, v64, v60
	v_fma_f32 v54, v18, v60, -v5
	v_fmac_f32_e32 v57, v63, v58
	v_mul_f32_e32 v5, v63, v59
	v_fma_f32 v49, v14, v21, -v9
	v_fma_f32 v55, v13, v58, -v5
	v_sub_f32_e32 v5, v57, v56
	v_sub_f32_e32 v9, v52, v53
	v_add_f32_e32 v5, v5, v9
	v_lshlrev_b32_sdwa v9, v6, v72 dst_sel:DWORD dst_unused:UNUSED_PAD src0_sel:DWORD src1_sel:BYTE_0
	v_add3_u32 v58, 0, v7, v9
	v_add_f32_e32 v9, v56, v53
	v_fma_f32 v9, -0.5, v9, v29
	v_add_f32_e32 v7, v29, v57
	v_sub_f32_e32 v17, v55, v44
	v_mov_b32_e32 v18, v9
	v_add_f32_e32 v7, v7, v56
	v_fmac_f32_e32 v18, 0xbf737871, v17
	v_sub_f32_e32 v19, v54, v49
	v_add_f32_e32 v7, v7, v53
	v_fmac_f32_e32 v18, 0xbf167918, v19
	v_add_f32_e32 v7, v7, v52
	v_fmac_f32_e32 v18, 0x3e9e377a, v5
	ds_read2_b32 v[13:14], v0 offset1:63
	s_waitcnt lgkmcnt(0)
	; wave barrier
	s_waitcnt lgkmcnt(0)
	ds_write2_b32 v58, v7, v18 offset1:27
	v_sub_f32_e32 v7, v56, v57
	v_sub_f32_e32 v18, v53, v52
	v_add_f32_e32 v7, v7, v18
	v_add_f32_e32 v18, v57, v52
	v_fma_f32 v18, -0.5, v18, v29
	v_mov_b32_e32 v20, v18
	v_fmac_f32_e32 v20, 0x3f737871, v19
	v_fmac_f32_e32 v18, 0xbf737871, v19
	;; [unrolled: 1-line block ×9, first 2 shown]
	v_add_f32_e32 v5, v51, v40
	v_add_f32_e32 v17, v50, v41
	ds_write2_b32 v58, v20, v18 offset0:54 offset1:81
	v_fma_f32 v7, -0.5, v5, v30
	v_add_f32_e32 v5, v30, v50
	v_fmac_f32_e32 v30, -0.5, v17
	v_sub_f32_e32 v17, v51, v50
	v_sub_f32_e32 v18, v40, v41
	v_add_f32_e32 v17, v17, v18
	v_sub_f32_e32 v18, v43, v11
	v_mov_b32_e32 v19, v30
	v_fmac_f32_e32 v19, 0x3f737871, v18
	v_sub_f32_e32 v20, v42, v37
	v_fmac_f32_e32 v30, 0xbf737871, v18
	v_fmac_f32_e32 v19, 0xbf167918, v20
	;; [unrolled: 1-line block ×5, first 2 shown]
	ds_write_b32 v58, v9 offset:432
	v_lshlrev_b32_sdwa v9, v6, v71 dst_sel:DWORD dst_unused:UNUSED_PAD src0_sel:DWORD src1_sel:BYTE_0
	v_mul_u32_u24_e32 v17, 0x21c, v70
	v_add3_u32 v59, 0, v17, v9
	v_sub_f32_e32 v9, v50, v51
	v_sub_f32_e32 v17, v41, v40
	v_add_f32_e32 v9, v9, v17
	v_mov_b32_e32 v17, v7
	v_add_f32_e32 v5, v5, v51
	v_fmac_f32_e32 v17, 0xbf737871, v20
	v_fmac_f32_e32 v7, 0x3f737871, v20
	v_add_f32_e32 v5, v5, v40
	v_fmac_f32_e32 v17, 0xbf167918, v18
	v_fmac_f32_e32 v7, 0x3f167918, v18
	v_fmac_f32_e32 v39, v67, v25
	v_add_f32_e32 v5, v5, v41
	v_fmac_f32_e32 v17, 0x3e9e377a, v9
	v_fmac_f32_e32 v7, 0x3e9e377a, v9
	ds_write2_b32 v59, v5, v17 offset1:27
	v_lshlrev_b32_sdwa v6, v6, v69 dst_sel:DWORD dst_unused:UNUSED_PAD src0_sel:DWORD src1_sel:BYTE_0
	v_add_f32_e32 v5, v38, v33
	v_add_f32_e32 v17, v39, v32
	ds_write_b32 v59, v7 offset:432
	v_mul_u32_u24_e32 v7, 0x21c, v68
	v_add_f32_e32 v9, v62, v39
	v_fma_f32 v5, -0.5, v5, v62
	v_fmac_f32_e32 v62, -0.5, v17
	v_sub_f32_e32 v17, v38, v39
	v_sub_f32_e32 v18, v33, v32
	v_add3_u32 v60, 0, v7, v6
	v_sub_f32_e32 v6, v39, v38
	v_sub_f32_e32 v7, v32, v33
	ds_write2_b32 v59, v19, v30 offset0:54 offset1:81
	v_add_f32_e32 v17, v17, v18
	v_sub_f32_e32 v18, v34, v31
	v_mov_b32_e32 v19, v62
	v_sub_f32_e32 v20, v36, v15
	v_add_f32_e32 v6, v6, v7
	v_add_f32_e32 v7, v9, v38
	v_mov_b32_e32 v9, v5
	v_fmac_f32_e32 v19, 0x3f737871, v18
	v_fmac_f32_e32 v62, 0xbf737871, v18
	v_fmac_f32_e32 v9, 0xbf737871, v20
	v_fmac_f32_e32 v5, 0x3f737871, v20
	v_fmac_f32_e32 v19, 0xbf167918, v20
	v_fmac_f32_e32 v62, 0x3f167918, v20
	v_add_f32_e32 v7, v7, v33
	v_fmac_f32_e32 v9, 0xbf167918, v18
	v_fmac_f32_e32 v5, 0x3f167918, v18
	;; [unrolled: 1-line block ×4, first 2 shown]
	v_add_f32_e32 v7, v7, v32
	v_fmac_f32_e32 v9, 0x3e9e377a, v6
	v_fmac_f32_e32 v5, 0x3e9e377a, v6
	ds_write2_b32 v60, v19, v62 offset0:54 offset1:81
	ds_write2_b32 v60, v7, v9 offset1:27
	ds_write_b32 v60, v5 offset:432
	s_waitcnt lgkmcnt(0)
	; wave barrier
	s_waitcnt lgkmcnt(0)
	v_add_u32_e32 v61, 0xc00, v0
	ds_read2_b32 v[17:18], v0 offset1:63
	ds_read2_b32 v[27:28], v0 offset0:135 offset1:198
	ds_read2_b32 v[19:20], v35 offset0:14 offset1:77
	;; [unrolled: 1-line block ×6, first 2 shown]
                                        ; implicit-def: $vgpr48
                                        ; implicit-def: $vgpr7
                                        ; implicit-def: $vgpr9
	s_and_saveexec_b64 s[4:5], s[0:1]
	s_cbranch_execz .LBB0_15
; %bb.14:
	v_add_u32_e32 v5, 0x100, v0
	ds_read2_b32 v[5:6], v5 offset0:62 offset1:197
	ds_read2_b32 v[7:8], v8 offset0:12 offset1:147
	;; [unrolled: 1-line block ×3, first 2 shown]
	ds_read_b32 v48, v0 offset:3744
.LBB0_15:
	s_or_b64 exec, exec, s[4:5]
	v_add_f32_e32 v63, v54, v49
	v_fma_f32 v63, -0.5, v63, v13
	v_sub_f32_e32 v52, v57, v52
	v_mov_b32_e32 v57, v63
	v_add_f32_e32 v62, v13, v55
	v_fmac_f32_e32 v57, 0x3f737871, v52
	v_sub_f32_e32 v53, v56, v53
	v_sub_f32_e32 v56, v55, v54
	v_sub_f32_e32 v64, v44, v49
	v_fmac_f32_e32 v63, 0xbf737871, v52
	v_add_f32_e32 v62, v62, v54
	v_fmac_f32_e32 v57, 0x3f167918, v53
	v_add_f32_e32 v56, v56, v64
	;; [unrolled: 2-line block ×3, first 2 shown]
	v_fmac_f32_e32 v57, 0x3e9e377a, v56
	v_fmac_f32_e32 v63, 0x3e9e377a, v56
	v_add_f32_e32 v56, v55, v44
	v_add_f32_e32 v62, v62, v44
	v_fma_f32 v13, -0.5, v56, v13
	v_sub_f32_e32 v44, v49, v44
	v_add_f32_e32 v49, v43, v11
	v_mov_b32_e32 v56, v13
	v_fma_f32 v49, -0.5, v49, v14
	v_fmac_f32_e32 v56, 0xbf737871, v53
	v_fmac_f32_e32 v13, 0x3f737871, v53
	v_sub_f32_e32 v41, v50, v41
	v_mov_b32_e32 v50, v49
	v_fmac_f32_e32 v56, 0x3f167918, v52
	v_fmac_f32_e32 v13, 0xbf167918, v52
	;; [unrolled: 1-line block ×3, first 2 shown]
	v_sub_f32_e32 v40, v51, v40
	v_sub_f32_e32 v51, v42, v43
	;; [unrolled: 1-line block ×3, first 2 shown]
	v_fmac_f32_e32 v49, 0xbf737871, v41
	v_sub_f32_e32 v54, v54, v55
	v_fmac_f32_e32 v50, 0x3f167918, v40
	v_add_f32_e32 v51, v51, v52
	v_fmac_f32_e32 v49, 0xbf167918, v40
	v_add_f32_e32 v44, v54, v44
	v_fmac_f32_e32 v50, 0x3e9e377a, v51
	v_fmac_f32_e32 v49, 0x3e9e377a, v51
	v_add_f32_e32 v51, v42, v37
	v_fmac_f32_e32 v56, 0x3e9e377a, v44
	v_fmac_f32_e32 v13, 0x3e9e377a, v44
	v_add_f32_e32 v44, v14, v42
	v_fmac_f32_e32 v14, -0.5, v51
	v_add_f32_e32 v44, v44, v43
	v_mov_b32_e32 v51, v14
	v_add_f32_e32 v44, v44, v11
	v_fmac_f32_e32 v51, 0xbf737871, v40
	v_sub_f32_e32 v42, v43, v42
	v_sub_f32_e32 v11, v11, v37
	v_fmac_f32_e32 v14, 0x3f737871, v40
	v_fmac_f32_e32 v51, 0x3f167918, v41
	v_add_f32_e32 v11, v42, v11
	v_fmac_f32_e32 v14, 0xbf167918, v41
	v_fmac_f32_e32 v51, 0x3e9e377a, v11
	;; [unrolled: 1-line block ×3, first 2 shown]
	v_add_f32_e32 v11, v12, v36
	v_add_f32_e32 v11, v11, v34
	;; [unrolled: 1-line block ×6, first 2 shown]
	v_fma_f32 v11, -0.5, v11, v12
	v_sub_f32_e32 v32, v39, v32
	v_mov_b32_e32 v39, v11
	v_fmac_f32_e32 v39, 0x3f737871, v32
	v_sub_f32_e32 v33, v38, v33
	v_sub_f32_e32 v38, v36, v34
	;; [unrolled: 1-line block ×3, first 2 shown]
	v_fmac_f32_e32 v11, 0xbf737871, v32
	v_fmac_f32_e32 v39, 0x3f167918, v33
	v_add_f32_e32 v38, v38, v40
	v_fmac_f32_e32 v11, 0xbf167918, v33
	v_fmac_f32_e32 v39, 0x3e9e377a, v38
	;; [unrolled: 1-line block ×3, first 2 shown]
	v_add_f32_e32 v38, v36, v15
	v_fmac_f32_e32 v12, -0.5, v38
	v_mov_b32_e32 v38, v12
	v_fmac_f32_e32 v38, 0xbf737871, v33
	v_sub_f32_e32 v34, v34, v36
	v_sub_f32_e32 v15, v31, v15
	v_fmac_f32_e32 v38, 0x3f167918, v32
	v_add_f32_e32 v15, v34, v15
	v_fmac_f32_e32 v12, 0x3f737871, v33
	v_fmac_f32_e32 v38, 0x3e9e377a, v15
	;; [unrolled: 1-line block ×4, first 2 shown]
	s_waitcnt lgkmcnt(0)
	; wave barrier
	s_waitcnt lgkmcnt(0)
	ds_write2_b32 v58, v62, v57 offset1:27
	ds_write2_b32 v58, v56, v13 offset0:54 offset1:81
	ds_write_b32 v58, v63 offset:432
	ds_write2_b32 v59, v44, v50 offset1:27
	ds_write2_b32 v59, v51, v14 offset0:54 offset1:81
	ds_write_b32 v59, v49 offset:432
	;; [unrolled: 3-line block ×3, first 2 shown]
	s_waitcnt lgkmcnt(0)
	; wave barrier
	s_waitcnt lgkmcnt(0)
	ds_read2_b32 v[31:32], v0 offset1:63
	ds_read2_b32 v[41:42], v0 offset0:135 offset1:198
	ds_read2_b32 v[33:34], v35 offset0:14 offset1:77
	ds_read2_b32 v[39:40], v35 offset0:149 offset1:212
	ds_read2_b32 v[37:38], v16 offset0:28 offset1:91
	ds_read2_b32 v[35:36], v16 offset0:163 offset1:226
	ds_read2_b32 v[43:44], v61 offset0:42 offset1:105
                                        ; implicit-def: $vgpr13
                                        ; implicit-def: $vgpr15
                                        ; implicit-def: $vgpr49
	s_and_saveexec_b64 s[4:5], s[0:1]
	s_cbranch_execz .LBB0_17
; %bb.16:
	v_add_u32_e32 v11, 0x100, v0
	v_add_u32_e32 v13, 0x600, v0
	;; [unrolled: 1-line block ×3, first 2 shown]
	ds_read2_b32 v[11:12], v11 offset0:62 offset1:197
	ds_read2_b32 v[13:14], v13 offset0:12 offset1:147
	;; [unrolled: 1-line block ×3, first 2 shown]
	ds_read_b32 v49, v0 offset:3744
.LBB0_17:
	s_or_b64 exec, exec, s[4:5]
	s_and_saveexec_b64 s[4:5], vcc
	s_cbranch_execz .LBB0_20
; %bb.18:
	v_mul_u32_u24_e32 v0, 6, v47
	v_lshlrev_b32_e32 v0, 3, v0
	global_load_dwordx4 v[50:53], v0, s[8:9] offset:1056
	global_load_dwordx4 v[54:57], v0, s[8:9] offset:1088
	;; [unrolled: 1-line block ×3, first 2 shown]
	v_mul_u32_u24_e32 v62, 6, v45
	v_lshlrev_b32_e32 v74, 3, v62
	global_load_dwordx4 v[62:65], v74, s[8:9] offset:1056
	global_load_dwordx4 v[66:69], v74, s[8:9] offset:1088
	global_load_dwordx4 v[70:73], v74, s[8:9] offset:1072
	v_mul_lo_u32 v0, s3, v3
	v_mul_lo_u32 v47, s2, v4
	v_mad_u64_u32 v[3:4], s[2:3], s2, v3, 0
	s_mov_b32 s3, 0xbf5ff5aa
	s_mov_b32 s2, 0x3eae86e6
	v_add3_u32 v4, v4, v47, v0
	s_mov_b32 s4, 0xbf3bfb3b
	s_mov_b32 s5, 0x3f3bfb3b
	;; [unrolled: 1-line block ×3, first 2 shown]
	s_movk_i32 s10, 0x87
	v_lshlrev_b64 v[3:4], 3, v[3:4]
	v_add_co_u32_e32 v3, vcc, s14, v3
	s_waitcnt vmcnt(5)
	v_mul_f32_e32 v0, v28, v50
	s_waitcnt vmcnt(4)
	v_mul_f32_e32 v47, v30, v56
	v_mul_f32_e32 v76, v20, v52
	;; [unrolled: 1-line block ×3, first 2 shown]
	s_waitcnt vmcnt(3)
	v_mul_f32_e32 v74, v24, v60
	v_mul_f32_e32 v75, v26, v58
	;; [unrolled: 1-line block ×8, first 2 shown]
	s_waitcnt lgkmcnt(5)
	v_fmac_f32_e32 v0, v42, v51
	s_waitcnt lgkmcnt(0)
	v_fmac_f32_e32 v47, v44, v57
	v_fmac_f32_e32 v76, v34, v53
	;; [unrolled: 1-line block ×5, first 2 shown]
	v_fma_f32 v30, v44, v56, -v30
	v_fma_f32 v28, v42, v50, -v28
	;; [unrolled: 1-line block ×6, first 2 shown]
	v_sub_f32_e32 v34, v0, v47
	v_add_f32_e32 v0, v0, v47
	v_add_f32_e32 v54, v76, v77
	v_sub_f32_e32 v36, v74, v75
	v_sub_f32_e32 v38, v76, v77
	v_add_f32_e32 v40, v28, v30
	v_add_f32_e32 v42, v24, v26
	;; [unrolled: 1-line block ×4, first 2 shown]
	v_sub_f32_e32 v24, v24, v26
	v_sub_f32_e32 v20, v20, v22
	v_add_f32_e32 v55, v0, v54
	v_sub_f32_e32 v28, v28, v30
	v_sub_f32_e32 v26, v36, v38
	v_add_f32_e32 v30, v36, v38
	v_sub_f32_e32 v50, v42, v44
	v_add_f32_e32 v51, v40, v44
	v_sub_f32_e32 v52, v0, v47
	v_sub_f32_e32 v53, v47, v54
	;; [unrolled: 1-line block ×3, first 2 shown]
	v_add_f32_e32 v47, v47, v55
	v_sub_f32_e32 v22, v34, v36
	v_sub_f32_e32 v36, v40, v42
	v_mul_f32_e32 v26, 0x3f08b237, v26
	v_add_f32_e32 v30, v34, v30
	v_mul_f32_e32 v59, 0x3d64c772, v50
	v_add_f32_e32 v42, v42, v51
	v_mul_f32_e32 v61, 0x3d64c772, v53
	v_mul_f32_e32 v74, 0x3f08b237, v57
	v_add_f32_e32 v50, v18, v47
	v_sub_f32_e32 v34, v38, v34
	v_sub_f32_e32 v56, v28, v24
	v_add_f32_e32 v24, v24, v20
	v_mul_f32_e32 v60, 0x3f4a47b2, v52
	v_mov_b32_e32 v75, v26
	v_add_f32_e32 v51, v32, v42
	v_mov_b32_e32 v32, v61
	v_mov_b32_e32 v18, v74
	;; [unrolled: 1-line block ×3, first 2 shown]
	v_mul_f32_e32 v38, 0xbf5ff5aa, v34
	v_sub_f32_e32 v0, v54, v0
	v_sub_f32_e32 v20, v20, v28
	v_add_f32_e32 v24, v28, v24
	v_mov_b32_e32 v53, v59
	v_fmac_f32_e32 v75, 0xbeae86e6, v22
	v_fmac_f32_e32 v32, 0x3f4a47b2, v52
	;; [unrolled: 1-line block ×4, first 2 shown]
	v_fma_f32 v22, v22, s2, -v38
	v_sub_f32_e32 v38, v44, v40
	v_fma_f32 v44, v0, s4, -v60
	v_mul_f32_e32 v28, 0xbf5ff5aa, v20
	v_fma_f32 v20, v20, s3, -v74
	v_fma_f32 v0, v0, s5, -v61
	v_mul_f32_e32 v58, 0x3f4a47b2, v36
	v_fmac_f32_e32 v53, 0x3f4a47b2, v36
	v_mov_b32_e32 v36, v51
	v_fmac_f32_e32 v18, 0xbee1c552, v24
	v_add_f32_e32 v32, v32, v76
	v_fma_f32 v28, v56, s2, -v28
	v_fma_f32 v26, v34, s3, -v26
	v_fmac_f32_e32 v20, 0xbee1c552, v24
	v_add_f32_e32 v0, v0, v76
	v_fmac_f32_e32 v75, 0xbee1c552, v30
	v_fmac_f32_e32 v36, 0xbf955555, v42
	v_sub_f32_e32 v52, v32, v18
	v_fmac_f32_e32 v22, 0xbee1c552, v30
	v_fma_f32 v40, v38, s4, -v58
	v_fmac_f32_e32 v28, 0xbee1c552, v24
	v_fmac_f32_e32 v26, 0xbee1c552, v30
	v_add_f32_e32 v56, v20, v0
	v_sub_f32_e32 v58, v0, v20
	v_add_f32_e32 v74, v18, v32
	s_waitcnt vmcnt(0)
	v_mul_f32_e32 v20, v23, v72
	v_mul_f32_e32 v24, v25, v70
	v_mul_f32_e32 v30, v19, v64
	v_mul_f32_e32 v32, v21, v66
	v_mul_f32_e32 v25, v25, v71
	v_mul_f32_e32 v23, v23, v73
	v_mul_f32_e32 v21, v21, v67
	v_mul_f32_e32 v19, v19, v65
	v_add_f32_e32 v42, v53, v36
	v_mul_f32_e32 v0, v27, v62
	v_mul_f32_e32 v18, v29, v68
	v_fmac_f32_e32 v30, v33, v65
	v_fmac_f32_e32 v32, v35, v67
	v_fma_f32 v25, v39, v70, -v25
	v_fma_f32 v23, v37, v72, -v23
	;; [unrolled: 1-line block ×4, first 2 shown]
	v_add_f32_e32 v53, v75, v42
	v_add_f32_e32 v40, v40, v36
	v_sub_f32_e32 v75, v42, v75
	v_fmac_f32_e32 v0, v41, v63
	v_fmac_f32_e32 v18, v43, v69
	;; [unrolled: 1-line block ×4, first 2 shown]
	v_mul_f32_e32 v29, v29, v69
	v_mul_f32_e32 v27, v27, v63
	v_add_f32_e32 v37, v23, v25
	v_add_f32_e32 v42, v33, v35
	;; [unrolled: 1-line block ×3, first 2 shown]
	v_sub_f32_e32 v61, v40, v22
	v_sub_f32_e32 v22, v0, v18
	;; [unrolled: 1-line block ×3, first 2 shown]
	v_fma_f32 v29, v43, v68, -v29
	v_fma_f32 v27, v41, v62, -v27
	v_sub_f32_e32 v19, v37, v42
	v_add_f32_e32 v0, v0, v18
	v_add_f32_e32 v18, v20, v24
	;; [unrolled: 1-line block ×3, first 2 shown]
	v_fma_f32 v38, v38, s5, -v59
	v_add_f32_e32 v40, v27, v29
	v_mul_f32_e32 v43, 0x3d64c772, v19
	v_sub_f32_e32 v32, v18, v30
	v_add_f32_e32 v36, v38, v36
	v_sub_f32_e32 v39, v40, v37
	v_mov_b32_e32 v21, v43
	v_mul_f32_e32 v32, 0x3d64c772, v32
	v_sub_f32_e32 v57, v36, v26
	v_add_f32_e32 v59, v26, v36
	v_sub_f32_e32 v26, v20, v24
	v_mul_f32_e32 v41, 0x3f4a47b2, v39
	v_fmac_f32_e32 v21, 0x3f4a47b2, v39
	v_add_f32_e32 v19, v40, v42
	v_sub_f32_e32 v20, v0, v18
	v_mov_b32_e32 v39, v32
	v_add_f32_e32 v44, v44, v76
	v_sub_f32_e32 v36, v26, v34
	v_add_f32_e32 v37, v37, v19
	v_mul_f32_e32 v24, 0x3f4a47b2, v20
	v_fmac_f32_e32 v39, 0x3f4a47b2, v20
	v_add_f32_e32 v20, v0, v30
	v_sub_f32_e32 v54, v44, v28
	v_add_f32_e32 v60, v28, v44
	v_sub_f32_e32 v28, v22, v26
	v_mul_f32_e32 v36, 0x3f08b237, v36
	v_add_f32_e32 v26, v26, v34
	v_add_f32_e32 v19, v31, v37
	;; [unrolled: 1-line block ×3, first 2 shown]
	v_sub_f32_e32 v34, v34, v22
	v_mov_b32_e32 v38, v36
	v_add_f32_e32 v26, v22, v26
	v_mov_b32_e32 v31, v19
	v_add_f32_e32 v18, v17, v20
	v_mul_f32_e32 v22, 0xbf5ff5aa, v34
	v_sub_f32_e32 v40, v42, v40
	v_fmac_f32_e32 v38, 0xbeae86e6, v28
	v_fmac_f32_e32 v31, 0xbf955555, v37
	v_mov_b32_e32 v17, v18
	v_fma_f32 v28, v28, s2, -v22
	v_fma_f32 v22, v40, s4, -v41
	v_sub_f32_e32 v0, v30, v0
	v_fmac_f32_e32 v17, 0xbf955555, v20
	v_sub_f32_e32 v27, v27, v29
	v_sub_f32_e32 v20, v23, v25
	;; [unrolled: 1-line block ×3, first 2 shown]
	v_add_f32_e32 v41, v22, v31
	v_fma_f32 v22, v0, s4, -v24
	v_fma_f32 v0, v0, s5, -v32
	v_add_f32_e32 v39, v39, v17
	v_sub_f32_e32 v23, v20, v29
	v_add_f32_e32 v30, v22, v17
	v_add_f32_e32 v0, v0, v17
	v_mul_hi_u32 v17, v45, s6
	v_sub_f32_e32 v25, v27, v20
	v_mul_f32_e32 v33, 0x3f08b237, v23
	v_add_f32_e32 v20, v20, v29
	v_sub_f32_e32 v24, v29, v27
	v_fma_f32 v29, v34, s3, -v36
	v_fmac_f32_e32 v38, 0xbee1c552, v26
	v_add_f32_e32 v44, v27, v20
	v_fmac_f32_e32 v28, 0xbee1c552, v26
	v_fmac_f32_e32 v29, 0xbee1c552, v26
	v_fma_f32 v26, v24, s3, -v33
	v_fmac_f32_e32 v26, 0xbee1c552, v44
	v_mul_f32_e32 v22, 0xbf5ff5aa, v24
	v_add_f32_e32 v24, v26, v0
	v_sub_f32_e32 v26, v0, v26
	v_lshrrev_b32_e32 v0, 7, v17
	v_mul_lo_u32 v0, v0, s10
	v_mov_b32_e32 v35, v33
	v_fmac_f32_e32 v35, 0xbeae86e6, v25
	v_fma_f32 v42, v25, s2, -v22
	v_sub_u32_e32 v32, v45, v0
	v_mov_b32_e32 v0, s15
	v_addc_co_u32_e32 v17, vcc, v0, v4, vcc
	v_lshlrev_b64 v[0:1], 3, v[1:2]
	v_fma_f32 v25, v40, s5, -v43
	v_add_co_u32_e32 v4, vcc, v3, v0
	v_addc_co_u32_e32 v17, vcc, v17, v1, vcc
	v_lshlrev_b32_e32 v0, 3, v32
	v_add_co_u32_e32 v2, vcc, v4, v0
	v_add_f32_e32 v37, v21, v31
	v_fmac_f32_e32 v35, 0xbee1c552, v44
	v_fmac_f32_e32 v42, 0xbee1c552, v44
	v_add_f32_e32 v27, v25, v31
	v_addc_co_u32_e32 v3, vcc, 0, v17, vcc
	v_add_u32_e32 v0, 63, v45
	v_add_f32_e32 v23, v28, v41
	v_sub_f32_e32 v22, v30, v42
	v_sub_f32_e32 v25, v27, v29
	v_add_f32_e32 v27, v29, v27
	v_sub_f32_e32 v29, v41, v28
	v_add_f32_e32 v28, v42, v30
	;; [unrolled: 2-line block ×3, first 2 shown]
	global_store_dwordx2 v[2:3], v[18:19], off
	global_store_dwordx2 v[2:3], v[30:31], off offset:1080
	v_mul_hi_u32 v18, v0, s6
	s_movk_i32 s6, 0x1000
	v_mov_b32_e32 v1, 0
	global_store_dwordx2 v[2:3], v[28:29], off offset:2160
	global_store_dwordx2 v[2:3], v[26:27], off offset:3240
	v_lshrrev_b32_e32 v18, 7, v18
	v_mul_lo_u32 v19, v18, s10
	v_add_co_u32_e32 v2, vcc, s6, v2
	s_movk_i32 s6, 0x3b1
	v_sub_u32_e32 v0, v0, v19
	v_mad_u64_u32 v[18:19], s[6:7], v18, s6, v[0:1]
	v_addc_co_u32_e32 v3, vcc, 0, v3, vcc
	v_mov_b32_e32 v19, v1
	v_add_f32_e32 v21, v38, v37
	v_sub_f32_e32 v20, v39, v35
	global_store_dwordx2 v[2:3], v[24:25], off offset:224
	global_store_dwordx2 v[2:3], v[22:23], off offset:1304
	;; [unrolled: 1-line block ×3, first 2 shown]
	v_lshlrev_b64 v[2:3], 3, v[18:19]
	v_add_u32_e32 v0, 0x87, v18
	v_add_co_u32_e32 v2, vcc, v4, v2
	v_addc_co_u32_e32 v3, vcc, v17, v3, vcc
	global_store_dwordx2 v[2:3], v[50:51], off
	v_lshlrev_b64 v[2:3], 3, v[0:1]
	v_add_u32_e32 v0, 0x10e, v18
	v_add_co_u32_e32 v2, vcc, v4, v2
	v_addc_co_u32_e32 v3, vcc, v17, v3, vcc
	global_store_dwordx2 v[2:3], v[74:75], off
	;; [unrolled: 5-line block ×6, first 2 shown]
	v_lshlrev_b64 v[2:3], 3, v[0:1]
	v_add_co_u32_e32 v2, vcc, v4, v2
	v_addc_co_u32_e32 v3, vcc, v17, v3, vcc
	global_store_dwordx2 v[2:3], v[52:53], off
	v_add_u32_e32 v2, 0x7e, v45
	v_cmp_gt_u32_e32 vcc, s10, v2
	s_and_b64 exec, exec, vcc
	s_cbranch_execz .LBB0_20
; %bb.19:
	v_add_u32_e32 v0, -9, v45
	v_cndmask_b32_e64 v0, v0, v46, s[0:1]
	v_mul_i32_i24_e32 v0, 6, v0
	v_lshlrev_b64 v[18:19], 3, v[0:1]
	v_mov_b32_e32 v0, s9
	v_add_co_u32_e32 v30, vcc, s8, v18
	v_addc_co_u32_e32 v31, vcc, v0, v19, vcc
	global_load_dwordx4 v[18:21], v[30:31], off offset:1056
	global_load_dwordx4 v[22:25], v[30:31], off offset:1072
	;; [unrolled: 1-line block ×3, first 2 shown]
	s_waitcnt vmcnt(2)
	v_mul_f32_e32 v0, v12, v19
	v_mul_f32_e32 v3, v6, v19
	v_mul_f32_e32 v19, v13, v21
	v_mul_f32_e32 v21, v7, v21
	s_waitcnt vmcnt(1)
	v_mul_f32_e32 v30, v14, v23
	v_mul_f32_e32 v23, v8, v23
	v_mul_f32_e32 v31, v15, v25
	v_mul_f32_e32 v25, v9, v25
	s_waitcnt vmcnt(0)
	v_mul_f32_e32 v32, v16, v27
	v_mul_f32_e32 v27, v10, v27
	v_mul_f32_e32 v33, v49, v29
	v_mul_f32_e32 v29, v48, v29
	v_fmac_f32_e32 v0, v6, v18
	v_fma_f32 v3, v12, v18, -v3
	v_fmac_f32_e32 v19, v7, v20
	v_fma_f32 v6, v13, v20, -v21
	;; [unrolled: 2-line block ×6, first 2 shown]
	v_add_f32_e32 v12, v0, v33
	v_add_f32_e32 v13, v3, v10
	v_sub_f32_e32 v3, v3, v10
	v_add_f32_e32 v10, v19, v32
	v_add_f32_e32 v14, v6, v9
	v_sub_f32_e32 v15, v19, v32
	v_sub_f32_e32 v6, v6, v9
	v_add_f32_e32 v9, v30, v31
	v_add_f32_e32 v16, v7, v8
	v_sub_f32_e32 v18, v31, v30
	v_sub_f32_e32 v7, v8, v7
	v_sub_f32_e32 v0, v0, v33
	v_add_f32_e32 v8, v10, v12
	v_add_f32_e32 v19, v14, v13
	v_sub_f32_e32 v20, v10, v12
	v_sub_f32_e32 v21, v14, v13
	;; [unrolled: 1-line block ×6, first 2 shown]
	v_add_f32_e32 v22, v18, v15
	v_add_f32_e32 v23, v7, v6
	v_sub_f32_e32 v24, v18, v15
	v_sub_f32_e32 v25, v7, v6
	v_sub_f32_e32 v26, v6, v3
	v_sub_f32_e32 v18, v0, v18
	v_sub_f32_e32 v7, v3, v7
	v_sub_f32_e32 v15, v15, v0
	v_add_f32_e32 v8, v9, v8
	v_add_f32_e32 v9, v16, v19
	;; [unrolled: 1-line block ×4, first 2 shown]
	v_mul_f32_e32 v12, 0x3f4a47b2, v12
	v_mul_f32_e32 v13, 0x3f4a47b2, v13
	;; [unrolled: 1-line block ×8, first 2 shown]
	v_add_f32_e32 v6, v11, v9
	v_fma_f32 v11, v20, s5, -v16
	v_fma_f32 v16, v21, s5, -v19
	;; [unrolled: 1-line block ×3, first 2 shown]
	v_fmac_f32_e32 v12, 0x3d64c772, v10
	v_fma_f32 v10, v21, s4, -v13
	v_fmac_f32_e32 v13, 0x3d64c772, v14
	v_fma_f32 v14, v15, s3, -v22
	v_fma_f32 v15, v26, s3, -v23
	v_fmac_f32_e32 v23, 0xbeae86e6, v7
	v_fma_f32 v20, v7, s2, -v25
	v_fmac_f32_e32 v23, 0xbee1c552, v3
	v_fmac_f32_e32 v15, 0xbee1c552, v3
	;; [unrolled: 1-line block ×3, first 2 shown]
	v_mov_b32_e32 v3, v1
	v_lshlrev_b64 v[2:3], 3, v[2:3]
	v_fmac_f32_e32 v22, 0xbeae86e6, v18
	v_fma_f32 v18, v18, s2, -v24
	v_add_co_u32_e32 v2, vcc, v4, v2
	v_add_f32_e32 v5, v5, v8
	v_fmac_f32_e32 v22, 0xbee1c552, v0
	v_fmac_f32_e32 v14, 0xbee1c552, v0
	;; [unrolled: 1-line block ×3, first 2 shown]
	v_addc_co_u32_e32 v3, vcc, v17, v3, vcc
	v_add_u32_e32 v0, 0x105, v45
	v_mov_b32_e32 v7, v5
	v_mov_b32_e32 v21, v6
	global_store_dwordx2 v[2:3], v[5:6], off
	v_lshlrev_b64 v[2:3], 3, v[0:1]
	v_fmac_f32_e32 v7, 0xbf955555, v8
	v_fmac_f32_e32 v21, 0xbf955555, v9
	v_add_f32_e32 v24, v12, v7
	v_add_f32_e32 v25, v13, v21
	v_add_co_u32_e32 v2, vcc, v4, v2
	v_add_f32_e32 v13, v11, v7
	v_add_f32_e32 v19, v19, v7
	;; [unrolled: 1-line block ×3, first 2 shown]
	v_sub_f32_e32 v8, v25, v22
	v_addc_co_u32_e32 v3, vcc, v17, v3, vcc
	v_add_u32_e32 v0, 0x18c, v45
	global_store_dwordx2 v[2:3], v[7:8], off
	v_lshlrev_b64 v[2:3], 3, v[0:1]
	v_add_f32_e32 v16, v16, v21
	v_add_f32_e32 v21, v10, v21
	v_add_co_u32_e32 v2, vcc, v4, v2
	v_add_f32_e32 v9, v20, v19
	v_sub_f32_e32 v10, v21, v18
	v_addc_co_u32_e32 v3, vcc, v17, v3, vcc
	v_add_u32_e32 v0, 0x213, v45
	global_store_dwordx2 v[2:3], v[9:10], off
	v_lshlrev_b64 v[2:3], 3, v[0:1]
	v_sub_f32_e32 v11, v13, v15
	v_add_co_u32_e32 v2, vcc, v4, v2
	v_add_f32_e32 v12, v14, v16
	v_addc_co_u32_e32 v3, vcc, v17, v3, vcc
	v_add_u32_e32 v0, 0x29a, v45
	global_store_dwordx2 v[2:3], v[11:12], off
	v_lshlrev_b64 v[2:3], 3, v[0:1]
	v_add_f32_e32 v13, v15, v13
	v_add_co_u32_e32 v2, vcc, v4, v2
	v_sub_f32_e32 v14, v16, v14
	v_addc_co_u32_e32 v3, vcc, v17, v3, vcc
	v_add_u32_e32 v0, 0x321, v45
	global_store_dwordx2 v[2:3], v[13:14], off
	v_lshlrev_b64 v[2:3], 3, v[0:1]
	v_add_u32_e32 v0, 0x3a8, v45
	v_add_co_u32_e32 v2, vcc, v4, v2
	v_lshlrev_b64 v[0:1], 3, v[0:1]
	v_addc_co_u32_e32 v3, vcc, v17, v3, vcc
	v_add_co_u32_e32 v0, vcc, v4, v0
	v_sub_f32_e32 v15, v19, v20
	v_add_f32_e32 v16, v18, v21
	v_sub_f32_e32 v18, v24, v23
	v_add_f32_e32 v19, v22, v25
	v_addc_co_u32_e32 v1, vcc, v17, v1, vcc
	global_store_dwordx2 v[2:3], v[15:16], off
	global_store_dwordx2 v[0:1], v[18:19], off
.LBB0_20:
	s_endpgm
	.section	.rodata,"a",@progbits
	.p2align	6, 0x0
	.amdhsa_kernel fft_rtc_back_len945_factors_3_3_3_5_7_wgs_63_tpt_63_halfLds_sp_op_CI_CI_unitstride_sbrr_dirReg
		.amdhsa_group_segment_fixed_size 0
		.amdhsa_private_segment_fixed_size 0
		.amdhsa_kernarg_size 104
		.amdhsa_user_sgpr_count 6
		.amdhsa_user_sgpr_private_segment_buffer 1
		.amdhsa_user_sgpr_dispatch_ptr 0
		.amdhsa_user_sgpr_queue_ptr 0
		.amdhsa_user_sgpr_kernarg_segment_ptr 1
		.amdhsa_user_sgpr_dispatch_id 0
		.amdhsa_user_sgpr_flat_scratch_init 0
		.amdhsa_user_sgpr_private_segment_size 0
		.amdhsa_uses_dynamic_stack 0
		.amdhsa_system_sgpr_private_segment_wavefront_offset 0
		.amdhsa_system_sgpr_workgroup_id_x 1
		.amdhsa_system_sgpr_workgroup_id_y 0
		.amdhsa_system_sgpr_workgroup_id_z 0
		.amdhsa_system_sgpr_workgroup_info 0
		.amdhsa_system_vgpr_workitem_id 0
		.amdhsa_next_free_vgpr 78
		.amdhsa_next_free_sgpr 28
		.amdhsa_reserve_vcc 1
		.amdhsa_reserve_flat_scratch 0
		.amdhsa_float_round_mode_32 0
		.amdhsa_float_round_mode_16_64 0
		.amdhsa_float_denorm_mode_32 3
		.amdhsa_float_denorm_mode_16_64 3
		.amdhsa_dx10_clamp 1
		.amdhsa_ieee_mode 1
		.amdhsa_fp16_overflow 0
		.amdhsa_exception_fp_ieee_invalid_op 0
		.amdhsa_exception_fp_denorm_src 0
		.amdhsa_exception_fp_ieee_div_zero 0
		.amdhsa_exception_fp_ieee_overflow 0
		.amdhsa_exception_fp_ieee_underflow 0
		.amdhsa_exception_fp_ieee_inexact 0
		.amdhsa_exception_int_div_zero 0
	.end_amdhsa_kernel
	.text
.Lfunc_end0:
	.size	fft_rtc_back_len945_factors_3_3_3_5_7_wgs_63_tpt_63_halfLds_sp_op_CI_CI_unitstride_sbrr_dirReg, .Lfunc_end0-fft_rtc_back_len945_factors_3_3_3_5_7_wgs_63_tpt_63_halfLds_sp_op_CI_CI_unitstride_sbrr_dirReg
                                        ; -- End function
	.section	.AMDGPU.csdata,"",@progbits
; Kernel info:
; codeLenInByte = 9384
; NumSgprs: 32
; NumVgprs: 78
; ScratchSize: 0
; MemoryBound: 0
; FloatMode: 240
; IeeeMode: 1
; LDSByteSize: 0 bytes/workgroup (compile time only)
; SGPRBlocks: 3
; VGPRBlocks: 19
; NumSGPRsForWavesPerEU: 32
; NumVGPRsForWavesPerEU: 78
; Occupancy: 3
; WaveLimiterHint : 1
; COMPUTE_PGM_RSRC2:SCRATCH_EN: 0
; COMPUTE_PGM_RSRC2:USER_SGPR: 6
; COMPUTE_PGM_RSRC2:TRAP_HANDLER: 0
; COMPUTE_PGM_RSRC2:TGID_X_EN: 1
; COMPUTE_PGM_RSRC2:TGID_Y_EN: 0
; COMPUTE_PGM_RSRC2:TGID_Z_EN: 0
; COMPUTE_PGM_RSRC2:TIDIG_COMP_CNT: 0
	.type	__hip_cuid_320bef418101a098,@object ; @__hip_cuid_320bef418101a098
	.section	.bss,"aw",@nobits
	.globl	__hip_cuid_320bef418101a098
__hip_cuid_320bef418101a098:
	.byte	0                               ; 0x0
	.size	__hip_cuid_320bef418101a098, 1

	.ident	"AMD clang version 19.0.0git (https://github.com/RadeonOpenCompute/llvm-project roc-6.4.0 25133 c7fe45cf4b819c5991fe208aaa96edf142730f1d)"
	.section	".note.GNU-stack","",@progbits
	.addrsig
	.addrsig_sym __hip_cuid_320bef418101a098
	.amdgpu_metadata
---
amdhsa.kernels:
  - .args:
      - .actual_access:  read_only
        .address_space:  global
        .offset:         0
        .size:           8
        .value_kind:     global_buffer
      - .offset:         8
        .size:           8
        .value_kind:     by_value
      - .actual_access:  read_only
        .address_space:  global
        .offset:         16
        .size:           8
        .value_kind:     global_buffer
      - .actual_access:  read_only
        .address_space:  global
        .offset:         24
        .size:           8
        .value_kind:     global_buffer
      - .actual_access:  read_only
        .address_space:  global
        .offset:         32
        .size:           8
        .value_kind:     global_buffer
      - .offset:         40
        .size:           8
        .value_kind:     by_value
      - .actual_access:  read_only
        .address_space:  global
        .offset:         48
        .size:           8
        .value_kind:     global_buffer
      - .actual_access:  read_only
        .address_space:  global
        .offset:         56
        .size:           8
        .value_kind:     global_buffer
      - .offset:         64
        .size:           4
        .value_kind:     by_value
      - .actual_access:  read_only
        .address_space:  global
        .offset:         72
        .size:           8
        .value_kind:     global_buffer
      - .actual_access:  read_only
        .address_space:  global
        .offset:         80
        .size:           8
        .value_kind:     global_buffer
      - .actual_access:  read_only
        .address_space:  global
        .offset:         88
        .size:           8
        .value_kind:     global_buffer
      - .actual_access:  write_only
        .address_space:  global
        .offset:         96
        .size:           8
        .value_kind:     global_buffer
    .group_segment_fixed_size: 0
    .kernarg_segment_align: 8
    .kernarg_segment_size: 104
    .language:       OpenCL C
    .language_version:
      - 2
      - 0
    .max_flat_workgroup_size: 63
    .name:           fft_rtc_back_len945_factors_3_3_3_5_7_wgs_63_tpt_63_halfLds_sp_op_CI_CI_unitstride_sbrr_dirReg
    .private_segment_fixed_size: 0
    .sgpr_count:     32
    .sgpr_spill_count: 0
    .symbol:         fft_rtc_back_len945_factors_3_3_3_5_7_wgs_63_tpt_63_halfLds_sp_op_CI_CI_unitstride_sbrr_dirReg.kd
    .uniform_work_group_size: 1
    .uses_dynamic_stack: false
    .vgpr_count:     78
    .vgpr_spill_count: 0
    .wavefront_size: 64
amdhsa.target:   amdgcn-amd-amdhsa--gfx906
amdhsa.version:
  - 1
  - 2
...

	.end_amdgpu_metadata
